;; amdgpu-corpus repo=ROCm/rocFFT kind=compiled arch=gfx950 opt=O3
	.text
	.amdgcn_target "amdgcn-amd-amdhsa--gfx950"
	.amdhsa_code_object_version 6
	.protected	fft_rtc_fwd_len60_factors_3_4_5_wgs_190_tpt_5_halfLds_dim2_sp_ip_CI_sbcc_twdbase8_2step_dirReg_intrinsicReadWrite ; -- Begin function fft_rtc_fwd_len60_factors_3_4_5_wgs_190_tpt_5_halfLds_dim2_sp_ip_CI_sbcc_twdbase8_2step_dirReg_intrinsicReadWrite
	.globl	fft_rtc_fwd_len60_factors_3_4_5_wgs_190_tpt_5_halfLds_dim2_sp_ip_CI_sbcc_twdbase8_2step_dirReg_intrinsicReadWrite
	.p2align	8
	.type	fft_rtc_fwd_len60_factors_3_4_5_wgs_190_tpt_5_halfLds_dim2_sp_ip_CI_sbcc_twdbase8_2step_dirReg_intrinsicReadWrite,@function
fft_rtc_fwd_len60_factors_3_4_5_wgs_190_tpt_5_halfLds_dim2_sp_ip_CI_sbcc_twdbase8_2step_dirReg_intrinsicReadWrite: ; @fft_rtc_fwd_len60_factors_3_4_5_wgs_190_tpt_5_halfLds_dim2_sp_ip_CI_sbcc_twdbase8_2step_dirReg_intrinsicReadWrite
; %bb.0:
	s_load_dwordx4 s[4:7], s[0:1], 0x10
	s_mov_b32 s3, 0
	s_waitcnt lgkmcnt(0)
	s_load_dwordx2 s[12:13], s[4:5], 0x8
	s_load_dwordx2 s[8:9], s[0:1], 0x50
	;; [unrolled: 1-line block ×3, first 2 shown]
	s_waitcnt lgkmcnt(0)
	s_add_u32 s4, s12, -1
	s_addc_u32 s5, s13, -1
	s_add_u32 s11, 0, 0x286b7a80
	s_addc_u32 s14, 0, 23
	s_mul_hi_u32 s16, s11, 0xffffffda
	s_add_i32 s14, s14, 0x6bca198
	s_sub_i32 s16, s16, s11
	s_mul_i32 s19, s14, 0xffffffda
	s_mul_i32 s15, s11, 0xffffffda
	s_add_i32 s16, s16, s19
	s_mul_hi_u32 s17, s14, s15
	s_mul_i32 s18, s14, s15
	s_mul_i32 s20, s11, s16
	s_mul_hi_u32 s15, s11, s15
	s_mul_hi_u32 s19, s11, s16
	s_add_u32 s15, s15, s20
	s_addc_u32 s19, 0, s19
	s_add_u32 s15, s15, s18
	s_mul_hi_u32 s20, s14, s16
	s_addc_u32 s15, s19, s17
	s_addc_u32 s17, s20, 0
	s_mul_i32 s16, s14, s16
	s_add_u32 s15, s15, s16
	v_mov_b32_e32 v1, s15
	s_addc_u32 s16, 0, s17
	v_add_co_u32_e32 v1, vcc, s11, v1
	s_cmp_lg_u64 vcc, 0
	s_addc_u32 s11, s14, s16
	v_readfirstlane_b32 s16, v1
	s_mul_i32 s15, s4, s11
	s_mul_hi_u32 s17, s4, s16
	s_mul_hi_u32 s14, s4, s11
	s_add_u32 s15, s17, s15
	s_addc_u32 s14, 0, s14
	s_mul_hi_u32 s18, s5, s16
	s_mul_i32 s16, s5, s16
	s_add_u32 s15, s15, s16
	s_mul_hi_u32 s17, s5, s11
	s_addc_u32 s14, s14, s18
	s_addc_u32 s15, s17, 0
	s_mul_i32 s11, s5, s11
	s_add_u32 s11, s14, s11
	s_addc_u32 s14, 0, s15
	s_add_u32 s15, s11, 1
	s_addc_u32 s16, s14, 0
	s_add_u32 s17, s11, 2
	s_mul_i32 s19, s14, 38
	s_mul_hi_u32 s20, s11, 38
	s_addc_u32 s18, s14, 0
	s_add_i32 s20, s20, s19
	s_mul_i32 s19, s11, 38
	v_mov_b32_e32 v1, s19
	v_sub_co_u32_e32 v1, vcc, s4, v1
	s_cmp_lg_u64 vcc, 0
	s_subb_u32 s4, s5, s20
	v_subrev_co_u32_e32 v2, vcc, 38, v1
	s_cmp_lg_u64 vcc, 0
	s_subb_u32 s5, s4, 0
	v_readfirstlane_b32 s19, v2
	s_cmp_gt_u32 s19, 37
	s_cselect_b32 s19, -1, 0
	s_cmp_eq_u32 s5, 0
	s_cselect_b32 s5, s19, -1
	s_cmp_lg_u32 s5, 0
	s_cselect_b32 s5, s17, s15
	s_cselect_b32 s15, s18, s16
	v_readfirstlane_b32 s16, v1
	s_cmp_gt_u32 s16, 37
	s_cselect_b32 s16, -1, 0
	s_cmp_eq_u32 s4, 0
	s_cselect_b32 s4, s16, -1
	s_cmp_lg_u32 s4, 0
	s_cselect_b32 s4, s5, s11
	s_cselect_b32 s14, s15, s14
	s_add_u32 s4, s4, 1
	s_addc_u32 s5, s14, 0
	v_mov_b64_e32 v[2:3], s[4:5]
	v_cmp_lt_u64_e32 vcc, s[2:3], v[2:3]
	s_mov_b64 s[14:15], 0
	s_cbranch_vccnz .LBB0_2
; %bb.1:
	v_cvt_f32_u32_e32 v1, s4
	s_sub_i32 s3, 0, s4
	v_rcp_iflag_f32_e32 v1, v1
	s_nop 0
	v_mul_f32_e32 v1, 0x4f7ffffe, v1
	v_cvt_u32_f32_e32 v1, v1
	s_nop 0
	v_readfirstlane_b32 s11, v1
	s_mul_i32 s3, s3, s11
	s_mul_hi_u32 s3, s11, s3
	s_add_i32 s11, s11, s3
	s_mul_hi_u32 s3, s2, s11
	s_mul_i32 s14, s3, s4
	s_sub_i32 s14, s2, s14
	s_add_i32 s11, s3, 1
	s_sub_i32 s15, s14, s4
	s_cmp_ge_u32 s14, s4
	s_cselect_b32 s3, s11, s3
	s_cselect_b32 s14, s15, s14
	s_add_i32 s11, s3, 1
	s_cmp_ge_u32 s14, s4
	s_cselect_b32 s14, s11, s3
.LBB0_2:
	s_mul_i32 s3, s14, s5
	s_mul_hi_u32 s5, s14, s4
	s_add_i32 s5, s5, s3
	s_mul_i32 s3, s14, s4
	s_sub_u32 s2, s2, s3
	s_subb_u32 s3, 0, s5
	s_load_dwordx4 s[4:7], s[6:7], 0x8
	v_mul_u32_u24_e32 v1, 0x6bd, v0
	v_lshrrev_b32_e32 v33, 16, v1
	s_waitcnt lgkmcnt(0)
	s_mul_i32 s5, s3, 38
	s_mul_hi_u32 s3, s2, 38
	s_mul_i32 s15, s2, 38
	v_mul_lo_u16_e32 v1, 38, v33
	s_add_i32 s7, s3, s5
	s_mul_i32 s3, s15, s4
	s_mul_i32 s6, s6, s14
	v_sub_u16_e32 v4, v0, v1
	v_mov_b32_e32 v5, 0
	s_add_u32 s11, s6, s3
	v_mad_u64_u32 v[18:19], s[2:3], s2, 38, v[4:5]
	s_add_u32 s2, s15, 38
	s_addc_u32 s3, s7, 0
	v_mov_b64_e32 v[2:3], s[12:13]
	v_add_u32_e32 v19, s5, v19
	v_cmp_le_u64_e32 vcc, s[2:3], v[2:3]
	v_mad_u64_u32 v[10:11], s[2:3], s4, v4, 0
	v_cmp_gt_u64_e64 s[2:3], s[12:13], v[18:19]
	s_or_b64 s[12:13], vcc, s[2:3]
	v_mov_b32_e32 v2, 0
	v_mov_b32_e32 v3, 0
	s_and_saveexec_b64 s[4:5], s[12:13]
	s_cbranch_execz .LBB0_4
; %bb.3:
	v_mul_lo_u32 v1, s10, v33
	v_add3_u32 v2, s11, v10, v1
	v_mov_b32_e32 v3, v5
	v_lshl_add_u64 v[2:3], v[2:3], 3, s[8:9]
	global_load_dwordx2 v[2:3], v[2:3], off
.LBB0_4:
	s_or_b64 exec, exec, s[4:5]
	v_mov_b32_e32 v9, 0
	s_and_saveexec_b64 s[4:5], s[12:13]
	s_cbranch_execz .LBB0_6
; %bb.5:
	v_add_u32_e32 v1, 20, v33
	v_mul_lo_u32 v1, s10, v1
	v_add3_u32 v6, s11, v10, v1
	v_mov_b32_e32 v7, 0
	v_lshl_add_u64 v[6:7], v[6:7], 3, s[8:9]
	global_load_dwordx2 v[8:9], v[6:7], off
	s_waitcnt vmcnt(0)
	v_mov_b32_e32 v5, v8
.LBB0_6:
	s_or_b64 exec, exec, s[4:5]
	v_mov_b32_e32 v6, 0
	v_mov_b32_e32 v12, 0
	v_mov_b32_e32 v13, 0
	s_and_saveexec_b64 s[4:5], s[12:13]
	s_cbranch_execz .LBB0_8
; %bb.7:
	v_or_b32_e32 v1, 40, v33
	v_mul_lo_u32 v1, s10, v1
	v_add3_u32 v12, s11, v10, v1
	v_mov_b32_e32 v13, 0
	v_lshl_add_u64 v[12:13], v[12:13], 3, s[8:9]
	global_load_dwordx2 v[12:13], v[12:13], off
.LBB0_8:
	s_or_b64 exec, exec, s[4:5]
	v_add_u32_e32 v19, 5, v33
	v_mov_b32_e32 v7, 0
	s_and_saveexec_b64 s[4:5], s[12:13]
	s_cbranch_execz .LBB0_10
; %bb.9:
	v_mul_lo_u32 v1, s10, v19
	v_add3_u32 v6, s11, v10, v1
	v_mov_b32_e32 v7, 0
	v_lshl_add_u64 v[6:7], v[6:7], 3, s[8:9]
	global_load_dwordx2 v[6:7], v[6:7], off
.LBB0_10:
	s_or_b64 exec, exec, s[4:5]
	v_mov_b32_e32 v16, 0
	v_mov_b32_e32 v20, 0
	;; [unrolled: 1-line block ×3, first 2 shown]
	s_and_saveexec_b64 s[4:5], s[12:13]
	s_cbranch_execz .LBB0_12
; %bb.11:
	v_add_u32_e32 v1, 25, v33
	v_mul_lo_u32 v1, s10, v1
	v_add3_u32 v14, s11, v10, v1
	v_mov_b32_e32 v15, 0
	v_lshl_add_u64 v[14:15], v[14:15], 3, s[8:9]
	global_load_dwordx2 v[20:21], v[14:15], off
.LBB0_12:
	s_or_b64 exec, exec, s[4:5]
	v_mov_b32_e32 v17, 0
	s_and_saveexec_b64 s[4:5], s[12:13]
	s_cbranch_execz .LBB0_14
; %bb.13:
	v_add_u32_e32 v1, 45, v33
	v_mul_lo_u32 v1, s10, v1
	v_add3_u32 v14, s11, v10, v1
	v_mov_b32_e32 v15, 0
	v_lshl_add_u64 v[14:15], v[14:15], 3, s[8:9]
	global_load_dwordx2 v[16:17], v[14:15], off
.LBB0_14:
	s_or_b64 exec, exec, s[4:5]
	v_add_u32_e32 v1, 10, v33
	v_mov_b32_e32 v24, 0
	v_mov_b32_e32 v14, 0
	;; [unrolled: 1-line block ×3, first 2 shown]
	s_and_saveexec_b64 s[4:5], s[12:13]
	s_cbranch_execz .LBB0_16
; %bb.15:
	v_mul_lo_u32 v8, s10, v1
	v_add3_u32 v14, s11, v10, v8
	v_mov_b32_e32 v15, 0
	v_lshl_add_u64 v[14:15], v[14:15], 3, s[8:9]
	global_load_dwordx2 v[14:15], v[14:15], off
.LBB0_16:
	s_or_b64 exec, exec, s[4:5]
	v_mov_b32_e32 v25, 0
	s_and_saveexec_b64 s[4:5], s[12:13]
	s_cbranch_execz .LBB0_18
; %bb.17:
	v_add_u32_e32 v8, 30, v33
	v_mul_lo_u32 v8, s10, v8
	v_add3_u32 v22, s11, v10, v8
	v_mov_b32_e32 v23, 0
	v_lshl_add_u64 v[22:23], v[22:23], 3, s[8:9]
	global_load_dwordx2 v[24:25], v[22:23], off
.LBB0_18:
	s_or_b64 exec, exec, s[4:5]
	v_mov_b32_e32 v22, 0
	v_mov_b32_e32 v26, 0
	;; [unrolled: 1-line block ×3, first 2 shown]
	s_and_saveexec_b64 s[4:5], s[12:13]
	s_cbranch_execz .LBB0_20
; %bb.19:
	v_add_u32_e32 v8, 50, v33
	v_mul_lo_u32 v8, s10, v8
	v_add3_u32 v26, s11, v10, v8
	v_mov_b32_e32 v27, 0
	v_lshl_add_u64 v[26:27], v[26:27], 3, s[8:9]
	global_load_dwordx2 v[26:27], v[26:27], off
.LBB0_20:
	s_or_b64 exec, exec, s[4:5]
	v_add_u32_e32 v32, 15, v33
	v_mov_b32_e32 v23, 0
	s_and_saveexec_b64 s[4:5], s[12:13]
	s_cbranch_execz .LBB0_22
; %bb.21:
	v_mul_lo_u32 v8, s10, v32
	v_add3_u32 v22, s11, v10, v8
	v_mov_b32_e32 v23, 0
	v_lshl_add_u64 v[22:23], v[22:23], 3, s[8:9]
	global_load_dwordx2 v[22:23], v[22:23], off
.LBB0_22:
	s_or_b64 exec, exec, s[4:5]
	s_load_dwordx2 s[6:7], s[0:1], 0x0
	v_mov_b32_e32 v28, 0
	v_mov_b32_e32 v30, 0
	;; [unrolled: 1-line block ×3, first 2 shown]
	s_and_saveexec_b64 s[4:5], s[12:13]
	s_cbranch_execz .LBB0_24
; %bb.23:
	v_add_u32_e32 v8, 35, v33
	v_mul_lo_u32 v8, s10, v8
	v_add3_u32 v30, s11, v10, v8
	v_mov_b32_e32 v31, 0
	v_lshl_add_u64 v[30:31], v[30:31], 3, s[8:9]
	global_load_dwordx2 v[30:31], v[30:31], off
.LBB0_24:
	s_or_b64 exec, exec, s[4:5]
	v_mov_b32_e32 v29, 0
	s_and_saveexec_b64 s[4:5], s[12:13]
	s_cbranch_execz .LBB0_26
; %bb.25:
	v_add_u32_e32 v8, 55, v33
	v_mul_lo_u32 v8, s10, v8
	v_add3_u32 v28, s11, v10, v8
	v_mov_b32_e32 v29, 0
	v_lshl_add_u64 v[28:29], v[28:29], 3, s[8:9]
	global_load_dwordx2 v[28:29], v[28:29], off
.LBB0_26:
	s_or_b64 exec, exec, s[4:5]
	v_mov_b32_e32 v8, v5
	s_waitcnt vmcnt(0)
	v_pk_add_f32 v[36:37], v[8:9], v[12:13]
	v_pk_add_f32 v[34:35], v[2:3], v[8:9]
	v_fmac_f32_e32 v2, -0.5, v36
	v_pk_add_f32 v[8:9], v[8:9], v[12:13] neg_lo:[0,1] neg_hi:[0,1]
	v_fmac_f32_e32 v3, -0.5, v37
	v_pk_add_f32 v[34:35], v[34:35], v[12:13]
	v_fmamk_f32 v5, v9, 0x3f5db3d7, v2
	v_fmac_f32_e32 v2, 0xbf5db3d7, v9
	v_fmamk_f32 v36, v8, 0xbf5db3d7, v3
	v_fmac_f32_e32 v3, 0x3f5db3d7, v8
	v_pk_add_f32 v[8:9], v[6:7], v[20:21]
	v_pk_add_f32 v[12:13], v[20:21], v[16:17]
	;; [unrolled: 1-line block ×3, first 2 shown]
	v_fmac_f32_e32 v6, -0.5, v12
	v_pk_add_f32 v[16:17], v[20:21], v[16:17] neg_lo:[0,1] neg_hi:[0,1]
	v_fmac_f32_e32 v7, -0.5, v13
	v_pk_add_f32 v[12:13], v[14:15], v[24:25]
	v_fmamk_f32 v11, v17, 0x3f5db3d7, v6
	v_fmac_f32_e32 v6, 0xbf5db3d7, v17
	v_fmamk_f32 v37, v16, 0xbf5db3d7, v7
	v_fmac_f32_e32 v7, 0x3f5db3d7, v16
	v_pk_add_f32 v[16:17], v[12:13], v[26:27]
	v_pk_add_f32 v[12:13], v[24:25], v[26:27]
	v_pk_add_f32 v[20:21], v[24:25], v[26:27] neg_lo:[0,1] neg_hi:[0,1]
	v_fmac_f32_e32 v14, -0.5, v12
	v_fmac_f32_e32 v15, -0.5, v13
	v_pk_add_f32 v[12:13], v[22:23], v[30:31]
	v_fmamk_f32 v26, v21, 0x3f5db3d7, v14
	v_fmac_f32_e32 v14, 0xbf5db3d7, v21
	v_fmamk_f32 v42, v20, 0xbf5db3d7, v15
	v_fmac_f32_e32 v15, 0x3f5db3d7, v20
	v_pk_add_f32 v[20:21], v[12:13], v[28:29]
	v_pk_add_f32 v[12:13], v[30:31], v[28:29]
	v_lshlrev_b32_e32 v52, 2, v4
	v_fmac_f32_e32 v23, -0.5, v13
	v_mul_u32_u24_e32 v13, 0x1c8, v33
	v_add3_u32 v4, 0, v13, v52
	ds_write2_b32 v4, v34, v5 offset1:38
	ds_write_b32 v4, v2 offset:304
	v_add_u32_e32 v5, 0x800, v4
	v_fmac_f32_e32 v22, -0.5, v12
	v_pk_add_f32 v[24:25], v[30:31], v[28:29] neg_lo:[0,1] neg_hi:[0,1]
	ds_write2_b32 v5, v8, v11 offset0:58 offset1:96
	ds_write_b32 v4, v6 offset:2584
	v_add_u32_e32 v8, 0x1000, v4
	s_movk_i32 s4, 0xfed0
	v_fmamk_f32 v12, v25, 0x3f5db3d7, v22
	v_fmac_f32_e32 v22, 0xbf5db3d7, v25
	ds_write2_b32 v8, v16, v26 offset0:116 offset1:154
	ds_write_b32 v4, v14 offset:4864
	v_add_u32_e32 v13, 0x1ab8, v4
	v_add_u32_e32 v14, 0x1800, v4
	v_mad_i32_i24 v11, v33, s4, v4
	v_fmamk_f32 v28, v24, 0xbf5db3d7, v23
	v_add_u32_e32 v2, 0x8e8, v4
	v_add_u32_e32 v6, 0x11d0, v4
	ds_write2_b32 v14, v20, v12 offset0:174 offset1:212
	ds_write_b32 v4, v22 offset:7144
	v_mad_i32_i24 v22, v32, s4, v13
	v_add_u32_e32 v26, 0x1100, v11
	v_add_u32_e32 v30, 0x1700, v11
	;; [unrolled: 1-line block ×4, first 2 shown]
	v_fmac_f32_e32 v23, 0x3f5db3d7, v24
	s_waitcnt lgkmcnt(0)
	s_barrier
	ds_read2_b32 v[12:13], v26 offset0:52 offset1:242
	ds_read2_b32 v[24:25], v30 offset0:48 offset1:238
	v_mad_i32_i24 v29, v19, s4, v2
	v_mad_i32_i24 v27, v1, s4, v6
	ds_read_b32 v53, v11
	ds_read_b32 v54, v27
	;; [unrolled: 1-line block ×4, first 2 shown]
	ds_read2_b32 v[38:39], v32 offset0:56 offset1:246
	ds_read2_b32 v[40:41], v48 offset0:44 offset1:234
	s_waitcnt lgkmcnt(0)
	s_barrier
	ds_write2_b32 v4, v35, v36 offset1:38
	ds_write_b32 v4, v3 offset:304
	ds_write2_b32 v5, v9, v37 offset0:58 offset1:96
	ds_write_b32 v4, v7 offset:2584
	ds_write2_b32 v8, v17, v42 offset0:116 offset1:154
	;; [unrolled: 2-line block ×3, first 2 shown]
	ds_write_b32 v4, v23 offset:7144
	v_mul_lo_u16_e32 v28, 0x56, v33
	v_mov_b32_e32 v14, 3
	v_mul_lo_u16_sdwa v2, v28, v14 dst_sel:DWORD dst_unused:UNUSED_PAD src0_sel:BYTE_1 src1_sel:DWORD
	v_sub_u16_e32 v56, v33, v2
	v_mul_lo_u16_e32 v2, 3, v56
	v_lshlrev_b32_sdwa v6, v14, v2 dst_sel:DWORD dst_unused:UNUSED_PAD src0_sel:DWORD src1_sel:BYTE_0
	v_mul_lo_u16_e32 v57, 0x56, v19
	s_waitcnt lgkmcnt(0)
	s_barrier
	global_load_dwordx2 v[16:17], v6, s[6:7] offset:16
	global_load_dwordx4 v[2:5], v6, s[6:7]
	v_mul_lo_u16_sdwa v6, v57, v14 dst_sel:DWORD dst_unused:UNUSED_PAD src0_sel:BYTE_1 src1_sel:DWORD
	v_sub_u16_e32 v58, v19, v6
	v_mul_u32_u24_sdwa v6, v58, v14 dst_sel:DWORD dst_unused:UNUSED_PAD src0_sel:BYTE_0 src1_sel:DWORD
	v_mul_lo_u16_e32 v59, 0x56, v1
	v_lshlrev_b32_e32 v15, 3, v6
	v_mul_lo_u16_sdwa v6, v59, v14 dst_sel:DWORD dst_unused:UNUSED_PAD src0_sel:BYTE_1 src1_sel:DWORD
	v_sub_u16_e32 v60, v1, v6
	global_load_dwordx4 v[6:9], v15, s[6:7]
	v_mul_u32_u24_sdwa v14, v60, v14 dst_sel:DWORD dst_unused:UNUSED_PAD src0_sel:BYTE_0 src1_sel:DWORD
	v_lshlrev_b32_e32 v14, 3, v14
	global_load_dwordx4 v[34:37], v14, s[6:7]
	global_load_dwordx2 v[20:21], v15, s[6:7] offset:16
	global_load_dwordx2 v[42:43], v14, s[6:7] offset:16
	ds_read2_b32 v[14:15], v26 offset0:52 offset1:242
	ds_read2_b32 v[44:45], v30 offset0:48 offset1:238
	ds_read_b32 v22, v22
	ds_read_b32 v23, v29
	ds_read2_b32 v[46:47], v32 offset0:56 offset1:246
	ds_read2_b32 v[48:49], v48 offset0:44 offset1:234
	ds_read_b32 v30, v11
	ds_read_b32 v51, v27
	s_movk_i32 s4, 0x98
	s_waitcnt lgkmcnt(0)
	s_barrier
	s_waitcnt vmcnt(4)
	v_mul_f32_e32 v26, v22, v3
	v_fma_f32 v26, v31, v2, -v26
	v_mul_f32_e32 v31, v31, v3
	v_fmac_f32_e32 v31, v22, v2
	v_mul_f32_e32 v2, v45, v17
	v_mul_f32_e32 v17, v25, v17
	v_fma_f32 v3, v25, v16, -v2
	v_fmac_f32_e32 v17, v45, v16
	s_waitcnt vmcnt(3)
	v_mul_f32_e32 v16, v46, v7
	v_mul_f32_e32 v32, v38, v7
	s_waitcnt vmcnt(2)
	v_mul_f32_e32 v2, v44, v37
	v_mul_f32_e32 v7, v24, v37
	;; [unrolled: 1-line block ×3, first 2 shown]
	v_fmac_f32_e32 v32, v46, v6
	v_fma_f32 v22, v24, v36, -v2
	v_fmac_f32_e32 v7, v44, v36
	v_mul_f32_e32 v2, v39, v35
	v_mul_f32_e32 v24, v47, v35
	v_fma_f32 v25, v12, v4, -v25
	v_fma_f32 v36, v38, v6, -v16
	v_mul_f32_e32 v6, v15, v9
	v_fmac_f32_e32 v2, v47, v34
	v_fma_f32 v16, v39, v34, -v24
	v_fma_f32 v24, v13, v8, -v6
	s_waitcnt vmcnt(1)
	v_mul_f32_e32 v6, v48, v21
	v_sub_f32_e32 v25, v53, v25
	v_sub_f32_e32 v34, v26, v3
	v_fma_f32 v35, v40, v20, -v6
	v_mul_f32_e32 v21, v40, v21
	v_fma_f32 v38, v53, 2.0, -v25
	v_fma_f32 v3, v26, 2.0, -v34
	v_fmac_f32_e32 v21, v48, v20
	v_sub_f32_e32 v26, v38, v3
	v_sub_f32_e32 v3, v55, v24
	;; [unrolled: 1-line block ×4, first 2 shown]
	v_fma_f32 v39, v38, 2.0, -v26
	v_fma_f32 v17, v55, 2.0, -v3
	v_sub_f32_e32 v38, v32, v21
	v_fma_f32 v21, v36, 2.0, -v35
	s_waitcnt vmcnt(0)
	v_mul_f32_e32 v50, v41, v42
	v_mul_f32_e32 v6, v49, v43
	v_sub_f32_e32 v36, v17, v21
	v_fma_f32 v44, v17, 2.0, -v36
	v_sub_f32_e32 v45, v3, v38
	v_add_f32_e32 v17, v51, v51
	v_pk_add_f32 v[6:7], v[50:51], v[6:7] neg_lo:[0,1] neg_hi:[0,1]
	v_mul_f32_e32 v20, v41, v43
	v_fma_f32 v46, v3, 2.0, -v45
	v_add_f32_e32 v3, v16, v16
	v_pk_add_f32 v[16:17], v[16:17], v[6:7] neg_lo:[0,1] neg_hi:[0,1]
	v_fmac_f32_e32 v20, v49, v42
	v_sub_f32_e32 v42, v25, v37
	v_sub_f32_e32 v40, v54, v22
	v_mov_b32_e32 v21, v16
	v_fma_f32 v43, v25, 2.0, -v42
	v_fma_f32 v41, v54, 2.0, -v40
	v_pk_add_f32 v[24:25], v[2:3], v[20:21] neg_lo:[0,1] neg_hi:[0,1]
	s_nop 0
	v_pk_add_f32 v[20:21], v[40:41], v[24:25] neg_lo:[0,1] neg_hi:[0,1]
	v_mov_b32_e32 v25, 12
	v_mul_lo_u16_sdwa v6, v28, v25 dst_sel:DWORD dst_unused:UNUSED_PAD src0_sel:BYTE_1 src1_sel:DWORD
	v_or_b32_e32 v6, v6, v56
	v_mul_u32_u24_sdwa v6, v6, s4 dst_sel:DWORD dst_unused:UNUSED_PAD src0_sel:BYTE_0 src1_sel:DWORD
	v_add3_u32 v6, 0, v6, v52
	v_add_u32_e32 v28, 0x200, v6
	ds_write2_b32 v28, v26, v42 offset0:100 offset1:214
	v_mul_u32_u24_sdwa v26, v57, v25 dst_sel:DWORD dst_unused:UNUSED_PAD src0_sel:BYTE_1 src1_sel:DWORD
	v_or_b32_sdwa v26, v26, v58 dst_sel:DWORD dst_unused:UNUSED_PAD src0_sel:DWORD src1_sel:BYTE_0
	v_mul_u32_u24_sdwa v25, v59, v25 dst_sel:DWORD dst_unused:UNUSED_PAD src0_sel:BYTE_1 src1_sel:DWORD
	v_mul_u32_u24_e32 v26, 0x98, v26
	v_or_b32_sdwa v25, v25, v60 dst_sel:DWORD dst_unused:UNUSED_PAD src0_sel:DWORD src1_sel:BYTE_0
	ds_write2_b32 v6, v39, v43 offset1:114
	v_add3_u32 v39, 0, v26, v52
	v_mul_u32_u24_e32 v25, 0x98, v25
	v_fma_f32 v3, v41, 2.0, -v21
	v_fma_f32 v22, v40, 2.0, -v20
	ds_write2_b32 v39, v44, v46 offset1:114
	v_add_u32_e32 v26, 0x200, v39
	v_add3_u32 v44, 0, v25, v52
	ds_write2_b32 v26, v36, v45 offset0:100 offset1:214
	ds_write2_b32 v44, v3, v22 offset1:114
	v_add_u32_e32 v3, 0x200, v44
	ds_write2_b32 v3, v21, v20 offset0:100 offset1:214
	v_add_u32_e32 v3, 0x700, v11
	s_waitcnt lgkmcnt(0)
	s_barrier
	ds_read2_b32 v[40:41], v3 offset0:8 offset1:198
	v_add_u32_e32 v3, 0xe00, v11
	ds_read2_b32 v[58:59], v3 offset0:16 offset1:206
	v_add_u32_e32 v3, 0x1500, v11
	;; [unrolled: 2-line block ×3, first 2 shown]
	ds_read2_b32 v[42:43], v3 offset0:32 offset1:222
	ds_read_b32 v36, v11
	ds_read_b32 v68, v29
	s_movk_i32 s4, 0x4b
	v_cmp_lt_u32_e64 s[4:5], s4, v0
	s_and_saveexec_b64 s[14:15], s[4:5]
	s_xor_b64 s[14:15], exec, s[14:15]
	s_or_saveexec_b64 s[14:15], s[14:15]
                                        ; implicit-def: $vgpr22
                                        ; implicit-def: $vgpr26
                                        ; implicit-def: $vgpr28
	s_xor_b64 exec, exec, s[14:15]
	s_cbranch_execz .LBB0_28
; %bb.27:
	ds_read_b32 v21, v27
	ds_read_b32 v20, v11 offset:3344
	ds_read_b32 v28, v11 offset:5168
	;; [unrolled: 1-line block ×4, first 2 shown]
.LBB0_28:
	s_or_b64 exec, exec, s[14:15]
	v_mul_f32_e32 v3, v12, v5
	v_fmac_f32_e32 v3, v14, v4
	v_mul_f32_e32 v4, v13, v9
	v_sub_f32_e32 v3, v30, v3
	v_fmac_f32_e32 v4, v15, v8
	v_add_f32_e32 v9, v3, v34
	v_fma_f32 v5, v30, 2.0, -v3
	v_fma_f32 v8, v31, 2.0, -v37
	;; [unrolled: 1-line block ×3, first 2 shown]
	v_sub_f32_e32 v3, v23, v4
	v_sub_f32_e32 v8, v5, v8
	v_fma_f32 v4, v23, 2.0, -v3
	v_fma_f32 v13, v32, 2.0, -v38
	v_add_f32_e32 v14, v3, v35
	v_fma_f32 v5, v5, 2.0, -v8
	v_sub_f32_e32 v13, v4, v13
	v_fma_f32 v15, v3, 2.0, -v14
	v_fma_f32 v3, v2, 2.0, -v24
	v_mov_b32_e32 v2, v7
	v_fma_f32 v4, v4, 2.0, -v13
	v_pk_add_f32 v[24:25], v[16:17], v[2:3]
	v_pk_add_f32 v[2:3], v[16:17], v[2:3] neg_lo:[0,1] neg_hi:[0,1]
	s_waitcnt lgkmcnt(0)
	s_barrier
	ds_write2_b32 v6, v5, v12 offset1:114
	v_add_u32_e32 v5, 0x200, v6
	v_fma_f32 v2, v17, 2.0, -v3
	ds_write2_b32 v5, v8, v9 offset0:100 offset1:214
	ds_write2_b32 v39, v4, v15 offset1:114
	v_add_u32_e32 v4, 0x200, v39
	v_fma_f32 v7, v7, 2.0, -v24
	ds_write2_b32 v4, v13, v14 offset0:100 offset1:214
	ds_write2_b32 v44, v2, v7 offset1:114
	v_add_u32_e32 v2, 0x200, v44
	ds_write2_b32 v2, v3, v24 offset0:100 offset1:214
	v_add_u32_e32 v2, 0x700, v11
	s_waitcnt lgkmcnt(0)
	s_barrier
	ds_read2_b32 v[70:71], v2 offset0:8 offset1:198
	v_add_u32_e32 v2, 0xe00, v11
	ds_read2_b32 v[76:77], v2 offset0:16 offset1:206
	v_add_u32_e32 v2, 0x1500, v11
	;; [unrolled: 2-line block ×3, first 2 shown]
	ds_read2_b32 v[72:73], v2 offset0:32 offset1:222
	ds_read_b32 v37, v11
	ds_read_b32 v69, v29
	s_and_saveexec_b64 s[14:15], s[4:5]
	s_xor_b64 s[4:5], exec, s[14:15]
; %bb.29:
	v_mov_b32_e32 v25, v3
                                        ; implicit-def: $vgpr27
                                        ; implicit-def: $vgpr11
; %bb.30:
	s_or_saveexec_b64 s[4:5], s[4:5]
                                        ; implicit-def: $vgpr32
                                        ; implicit-def: $vgpr34
                                        ; implicit-def: $vgpr38
	s_xor_b64 exec, exec, s[4:5]
	s_cbranch_execz .LBB0_32
; %bb.31:
	ds_read_b32 v25, v27
	ds_read_b32 v24, v11 offset:3344
	ds_read_b32 v38, v11 offset:5168
	;; [unrolled: 1-line block ×4, first 2 shown]
.LBB0_32:
	s_or_b64 exec, exec, s[4:5]
	v_mul_lo_u16_e32 v2, 22, v1
	v_lshrrev_b16_e32 v23, 8, v2
	v_mul_lo_u16_e32 v2, 12, v23
	s_load_dwordx2 s[4:5], s[0:1], 0x8
	v_sub_u16_e32 v2, v1, v2
	v_and_b32_e32 v2, 0xff, v2
	v_add_u32_e32 v5, 12, v2
	v_mul_lo_u32 v3, v18, v2
	v_mov_b32_e32 v29, 3
	v_mul_lo_u32 v5, v18, v5
	v_lshlrev_b32_sdwa v4, v29, v3 dst_sel:DWORD dst_unused:UNUSED_PAD src0_sel:DWORD src1_sel:BYTE_0
	v_lshlrev_b32_sdwa v3, v29, v3 dst_sel:DWORD dst_unused:UNUSED_PAD src0_sel:DWORD src1_sel:BYTE_1
	v_lshlrev_b32_sdwa v6, v29, v5 dst_sel:DWORD dst_unused:UNUSED_PAD src0_sel:DWORD src1_sel:BYTE_0
	v_lshlrev_b32_sdwa v5, v29, v5 dst_sel:DWORD dst_unused:UNUSED_PAD src0_sel:DWORD src1_sel:BYTE_1
	v_lshlrev_b32_e32 v11, 5, v2
	s_waitcnt lgkmcnt(0)
	global_load_dwordx2 v[48:49], v4, s[4:5]
	global_load_dwordx2 v[52:53], v3, s[4:5] offset:2048
	global_load_dwordx2 v[44:45], v6, s[4:5]
	global_load_dwordx2 v[46:47], v5, s[4:5] offset:2048
	v_add_u32_e32 v3, 24, v2
	v_add_u32_e32 v5, 36, v2
	v_or_b32_e32 v2, 48, v2
	v_mul_lo_u32 v3, v18, v3
	v_mul_lo_u32 v5, v18, v5
	;; [unrolled: 1-line block ×3, first 2 shown]
	v_lshlrev_b32_sdwa v4, v29, v3 dst_sel:DWORD dst_unused:UNUSED_PAD src0_sel:DWORD src1_sel:BYTE_0
	v_lshlrev_b32_sdwa v3, v29, v3 dst_sel:DWORD dst_unused:UNUSED_PAD src0_sel:DWORD src1_sel:BYTE_1
	v_lshlrev_b32_sdwa v6, v29, v5 dst_sel:DWORD dst_unused:UNUSED_PAD src0_sel:DWORD src1_sel:BYTE_0
	v_lshlrev_b32_sdwa v5, v29, v5 dst_sel:DWORD dst_unused:UNUSED_PAD src0_sel:DWORD src1_sel:BYTE_1
	v_lshlrev_b32_sdwa v12, v29, v2 dst_sel:DWORD dst_unused:UNUSED_PAD src0_sel:DWORD src1_sel:BYTE_0
	global_load_dwordx2 v[60:61], v4, s[4:5]
	global_load_dwordx2 v[64:65], v3, s[4:5] offset:2048
	global_load_dwordx2 v[54:55], v6, s[4:5]
	global_load_dwordx2 v[56:57], v5, s[4:5] offset:2048
	v_lshlrev_b32_sdwa v13, v29, v2 dst_sel:DWORD dst_unused:UNUSED_PAD src0_sel:DWORD src1_sel:BYTE_1
	global_load_dwordx2 v[62:63], v12, s[4:5]
	global_load_dwordx2 v[66:67], v13, s[4:5] offset:2048
	global_load_dwordx4 v[2:5], v11, s[6:7] offset:88
	global_load_dwordx4 v[6:9], v11, s[6:7] offset:72
	v_add_u32_e32 v30, s11, v10
	s_and_saveexec_b64 s[0:1], s[12:13]
	s_cbranch_execz .LBB0_34
; %bb.33:
	v_mul_lo_u16_e32 v27, 22, v19
	v_mov_b32_e32 v10, 12
	v_mul_lo_u16_sdwa v10, v27, v10 dst_sel:DWORD dst_unused:UNUSED_PAD src0_sel:BYTE_1 src1_sel:DWORD
	v_sub_u16_e32 v10, v19, v10
	v_and_b32_e32 v31, 0xff, v10
	v_lshlrev_b32_e32 v35, 5, v31
	global_load_dwordx4 v[14:17], v35, s[6:7] offset:72
	global_load_dwordx4 v[10:13], v35, s[6:7] offset:88
	v_or_b32_e32 v35, 48, v31
	v_add_u32_e32 v39, 36, v31
	v_mul_lo_u32 v35, v18, v35
	v_mul_lo_u32 v39, v18, v39
	v_lshlrev_b32_sdwa v80, v29, v35 dst_sel:DWORD dst_unused:UNUSED_PAD src0_sel:DWORD src1_sel:BYTE_0
	v_lshlrev_b32_sdwa v35, v29, v35 dst_sel:DWORD dst_unused:UNUSED_PAD src0_sel:DWORD src1_sel:BYTE_1
	v_lshlrev_b32_sdwa v81, v29, v39 dst_sel:DWORD dst_unused:UNUSED_PAD src0_sel:DWORD src1_sel:BYTE_0
	v_lshlrev_b32_sdwa v39, v29, v39 dst_sel:DWORD dst_unused:UNUSED_PAD src0_sel:DWORD src1_sel:BYTE_1
	global_load_dwordx2 v[78:79], v35, s[4:5] offset:2048
	global_load_dwordx2 v[88:89], v80, s[4:5]
	global_load_dwordx2 v[94:95], v39, s[4:5] offset:2048
	global_load_dwordx2 v[96:97], v81, s[4:5]
	v_add_u32_e32 v35, 24, v31
	v_mul_lo_u32 v35, v18, v35
	v_lshlrev_b32_sdwa v39, v29, v35 dst_sel:DWORD dst_unused:UNUSED_PAD src0_sel:DWORD src1_sel:BYTE_0
	v_lshlrev_b32_sdwa v35, v29, v35 dst_sel:DWORD dst_unused:UNUSED_PAD src0_sel:DWORD src1_sel:BYTE_1
	global_load_dwordx2 v[102:103], v39, s[4:5]
	global_load_dwordx2 v[104:105], v35, s[4:5] offset:2048
	v_add_u32_e32 v35, 12, v31
	v_mul_lo_u32 v35, v18, v35
	v_lshlrev_b32_sdwa v39, v29, v35 dst_sel:DWORD dst_unused:UNUSED_PAD src0_sel:DWORD src1_sel:BYTE_0
	v_lshlrev_b32_sdwa v35, v29, v35 dst_sel:DWORD dst_unused:UNUSED_PAD src0_sel:DWORD src1_sel:BYTE_1
	global_load_dwordx2 v[90:91], v39, s[4:5]
	global_load_dwordx2 v[92:93], v35, s[4:5] offset:2048
	v_mov_b32_e32 v84, v71
	v_mov_b32_e32 v100, v77
	;; [unrolled: 1-line block ×12, first 2 shown]
	s_mov_b32 s16, 0x3f737871
	s_mov_b32 s14, 0x3f167918
	;; [unrolled: 1-line block ×3, first 2 shown]
	s_waitcnt vmcnt(9)
	v_pk_mul_f32 v[84:85], v[84:85], v[14:15] op_sel_hi:[0,1]
	v_pk_mul_f32 v[100:101], v[100:101], v[16:17] op_sel_hi:[0,1]
	s_waitcnt vmcnt(8)
	v_pk_mul_f32 v[110:111], v[110:111], v[12:13] op_sel_hi:[0,1]
	v_pk_mul_f32 v[116:117], v[116:117], v[10:11] op_sel_hi:[0,1]
	v_pk_fma_f32 v[80:81], v[80:81], v[14:15], v[84:85] op_sel:[0,0,1] op_sel_hi:[1,1,0] neg_lo:[0,0,1] neg_hi:[0,0,1]
	v_pk_fma_f32 v[14:15], v[82:83], v[14:15], v[84:85] op_sel:[0,0,1] op_sel_hi:[0,1,0]
	v_pk_fma_f32 v[84:85], v[86:87], v[16:17], v[100:101] op_sel:[0,0,1] op_sel_hi:[1,1,0] neg_lo:[0,0,1] neg_hi:[0,0,1]
	v_pk_fma_f32 v[16:17], v[98:99], v[16:17], v[100:101] op_sel:[0,0,1] op_sel_hi:[0,1,0]
	;; [unrolled: 2-line block ×4, first 2 shown]
	v_mov_b32_e32 v81, v15
	v_mov_b32_e32 v85, v17
	;; [unrolled: 1-line block ×4, first 2 shown]
	s_waitcnt vmcnt(7)
	v_mov_b32_e32 v10, v79
	s_waitcnt vmcnt(6)
	v_pk_mul_f32 v[12:13], v[88:89], v[78:79] op_sel:[1,0] op_sel_hi:[0,1]
	s_waitcnt vmcnt(4)
	v_pk_mul_f32 v[14:15], v[96:97], v[94:95] op_sel:[1,0] op_sel_hi:[0,1]
	v_mov_b32_e32 v12, v95
	v_pk_add_f32 v[100:101], v[84:85], v[86:87]
	v_pk_mul_f32 v[10:11], v[88:89], v[10:11] op_sel:[1,0] op_sel_hi:[0,1]
	v_mov_b32_e32 v14, v13
	v_pk_add_f32 v[16:17], v[80:81], v[84:85] neg_lo:[0,1] neg_hi:[0,1]
	v_pk_add_f32 v[98:99], v[82:83], v[86:87] neg_lo:[0,1] neg_hi:[0,1]
	;; [unrolled: 1-line block ×3, first 2 shown]
	v_pk_mul_f32 v[12:13], v[96:97], v[12:13] op_sel:[1,0] op_sel_hi:[0,1]
	v_mov_b32_e32 v116, v15
	v_pk_fma_f32 v[118:119], v[88:89], v[78:79], v[10:11] neg_lo:[0,0,1] neg_hi:[0,0,1]
	v_pk_fma_f32 v[10:11], v[88:89], v[78:79], v[14:15] op_sel:[1,0,0] op_sel_hi:[0,1,1]
	v_pk_fma_f32 v[14:15], v[100:101], 0.5, v[68:69] op_sel_hi:[1,0,1] neg_lo:[1,0,0] neg_hi:[1,0,0]
	v_pk_add_f32 v[108:109], v[84:85], v[86:87] neg_lo:[0,1] neg_hi:[0,1]
	v_pk_add_f32 v[88:89], v[16:17], v[98:99]
	v_pk_fma_f32 v[98:99], v[96:97], v[94:95], v[12:13] neg_lo:[0,0,1] neg_hi:[0,0,1]
	v_pk_fma_f32 v[96:97], v[96:97], v[94:95], v[116:117] op_sel:[1,0,0] op_sel_hi:[0,1,1]
	v_pk_fma_f32 v[100:101], v[106:107], s[16:17], v[14:15] op_sel:[1,0,0] op_sel_hi:[0,0,1] neg_lo:[1,0,0] neg_hi:[1,0,0]
	v_pk_fma_f32 v[94:95], v[106:107], s[16:17], v[14:15] op_sel:[1,0,0] op_sel_hi:[0,0,1]
	v_pk_fma_f32 v[12:13], v[108:109], s[14:15], v[100:101] op_sel:[1,0,0] op_sel_hi:[0,0,1] neg_lo:[1,0,0] neg_hi:[1,0,0]
	v_pk_fma_f32 v[14:15], v[108:109], s[14:15], v[94:95] op_sel:[1,0,0] op_sel_hi:[0,0,1]
	v_pk_add_f32 v[114:115], v[80:81], v[82:83]
	v_mov_b32_e32 v13, v15
	v_pk_add_f32 v[110:111], v[84:85], v[80:81] neg_lo:[0,1] neg_hi:[0,1]
	v_pk_add_f32 v[112:113], v[86:87], v[82:83] neg_lo:[0,1] neg_hi:[0,1]
	v_pk_fma_f32 v[16:17], v[114:115], 0.5, v[68:69] op_sel_hi:[1,0,1] neg_lo:[1,0,0] neg_hi:[1,0,0]
	v_pk_fma_f32 v[12:13], v[88:89], s[12:13], v[12:13] op_sel_hi:[1,0,1]
	v_pk_add_f32 v[78:79], v[110:111], v[112:113]
	v_pk_fma_f32 v[110:111], v[108:109], s[16:17], v[16:17] op_sel:[1,0,0] op_sel_hi:[0,0,1]
	v_pk_fma_f32 v[112:113], v[108:109], s[16:17], v[16:17] op_sel:[1,0,0] op_sel_hi:[0,0,1] neg_lo:[1,0,0] neg_hi:[1,0,0]
	v_pk_mul_f32 v[14:15], v[12:13], v[10:11] op_sel_hi:[1,0]
	v_pk_fma_f32 v[16:17], v[106:107], s[14:15], v[112:113] op_sel:[1,0,0] op_sel_hi:[0,0,1]
	v_pk_fma_f32 v[10:11], v[12:13], v[118:119], v[14:15] op_sel:[0,0,1] op_sel_hi:[1,1,0] neg_lo:[0,0,1] neg_hi:[0,0,1]
	v_pk_fma_f32 v[12:13], v[12:13], v[118:119], v[14:15] op_sel:[0,0,1] op_sel_hi:[1,0,0]
	v_pk_fma_f32 v[14:15], v[106:107], s[14:15], v[110:111] op_sel:[1,0,0] op_sel_hi:[0,0,1] neg_lo:[1,0,0] neg_hi:[1,0,0]
	v_mov_b32_e32 v15, v17
	v_pk_fma_f32 v[16:17], v[78:79], s[12:13], v[14:15] op_sel_hi:[1,0,1]
	v_pk_mul_f32 v[78:79], v[78:79], s[12:13] op_sel_hi:[1,0]
	v_pk_mul_f32 v[96:97], v[16:17], v[96:97] op_sel_hi:[1,0]
	;; [unrolled: 1-line block ×3, first 2 shown]
	v_pk_fma_f32 v[14:15], v[16:17], v[98:99], v[96:97] op_sel:[0,0,1] op_sel_hi:[1,1,0] neg_lo:[0,0,1] neg_hi:[0,0,1]
	v_pk_fma_f32 v[16:17], v[16:17], v[98:99], v[96:97] op_sel:[0,0,1] op_sel_hi:[1,0,0]
	v_pk_mul_f32 v[98:99], v[106:107], s[14:15] op_sel:[1,0] op_sel_hi:[0,0]
	v_add_f32_e32 v12, v98, v112
	s_waitcnt vmcnt(2)
	v_mul_f32_e32 v16, v102, v105
	v_sub_f32_e32 v11, v111, v99
	v_mul_f32_e32 v15, v103, v105
	v_add_f32_e32 v12, v78, v12
	v_fmac_f32_e32 v16, v103, v104
	v_add_f32_e32 v11, v79, v11
	v_fma_f32 v15, v102, v104, -v15
	v_mul_f32_e32 v79, v12, v16
	v_fmac_f32_e32 v79, v11, v15
	v_mul_f32_e32 v11, v11, v16
	v_mul_lo_u32 v16, v18, v31
	v_lshlrev_b32_sdwa v31, v29, v16 dst_sel:DWORD dst_unused:UNUSED_PAD src0_sel:DWORD src1_sel:BYTE_0
	v_lshlrev_b32_sdwa v16, v29, v16 dst_sel:DWORD dst_unused:UNUSED_PAD src0_sel:DWORD src1_sel:BYTE_1
	v_fma_f32 v78, v12, v15, -v11
	v_and_b32_e32 v15, 0xffff, v33
	global_load_dwordx2 v[98:99], v31, s[4:5]
	global_load_dwordx2 v[102:103], v16, s[4:5] offset:2048
	v_or_b32_e32 v16, 48, v15
	v_mul_lo_u32 v12, v18, v16
	v_pk_mul_f32 v[96:97], v[108:109], s[14:15] op_sel:[1,0] op_sel_hi:[0,0]
	v_lshlrev_b32_sdwa v31, v29, v12 dst_sel:DWORD dst_unused:UNUSED_PAD src0_sel:DWORD src1_sel:BYTE_0
	v_sub_f32_e32 v11, v101, v97
	v_lshlrev_b32_sdwa v12, v29, v12 dst_sel:DWORD dst_unused:UNUSED_PAD src0_sel:DWORD src1_sel:BYTE_1
	global_load_dwordx2 v[100:101], v31, s[4:5]
	global_load_dwordx2 v[104:105], v12, s[4:5] offset:2048
	v_add_u32_e32 v31, 36, v15
	v_mul_lo_u32 v12, v18, v31
	v_lshlrev_b32_sdwa v33, v29, v12 dst_sel:DWORD dst_unused:UNUSED_PAD src0_sel:DWORD src1_sel:BYTE_0
	v_lshlrev_b32_sdwa v12, v29, v12 dst_sel:DWORD dst_unused:UNUSED_PAD src0_sel:DWORD src1_sel:BYTE_1
	global_load_dwordx2 v[106:107], v12, s[4:5] offset:2048
	global_load_dwordx2 v[108:109], v33, s[4:5]
	v_or_b32_e32 v33, 24, v15
	v_mul_lo_u32 v35, v18, v33
	v_lshlrev_b32_sdwa v39, v29, v35 dst_sel:DWORD dst_unused:UNUSED_PAD src0_sel:DWORD src1_sel:BYTE_0
	v_lshlrev_b32_sdwa v35, v29, v35 dst_sel:DWORD dst_unused:UNUSED_PAD src0_sel:DWORD src1_sel:BYTE_1
	global_load_dwordx2 v[110:111], v39, s[4:5]
	global_load_dwordx2 v[112:113], v35, s[4:5] offset:2048
	v_add_u32_e32 v35, 12, v15
	v_mul_lo_u32 v39, v18, v35
	v_lshlrev_b32_sdwa v41, v29, v39 dst_sel:DWORD dst_unused:UNUSED_PAD src0_sel:DWORD src1_sel:BYTE_0
	v_lshlrev_b32_sdwa v39, v29, v39 dst_sel:DWORD dst_unused:UNUSED_PAD src0_sel:DWORD src1_sel:BYTE_1
	v_mul_lo_u32 v18, v18, v15
	s_waitcnt vmcnt(8)
	v_mul_f32_e32 v12, v91, v93
	global_load_dwordx2 v[114:115], v41, s[4:5]
	global_load_dwordx2 v[116:117], v39, s[4:5] offset:2048
	v_lshlrev_b32_sdwa v39, v29, v18 dst_sel:DWORD dst_unused:UNUSED_PAD src0_sel:DWORD src1_sel:BYTE_0
	v_lshlrev_b32_sdwa v18, v29, v18 dst_sel:DWORD dst_unused:UNUSED_PAD src0_sel:DWORD src1_sel:BYTE_1
	global_load_dwordx2 v[118:119], v18, s[4:5] offset:2048
	global_load_dwordx2 v[120:121], v39, s[4:5]
	v_fma_f32 v18, v90, v92, -v12
	v_mul_f32_e32 v12, v90, v93
	v_lshlrev_b32_e32 v29, 5, v15
	v_fmac_f32_e32 v12, v91, v92
	global_load_dwordx4 v[90:93], v29, s[6:7] offset:72
	v_add_f32_e32 v39, v96, v94
	global_load_dwordx4 v[94:97], v29, s[6:7] offset:88
	v_pk_add_f32 v[68:69], v[68:69], v[80:81]
	v_add_f32_e32 v11, v89, v11
	v_add_f32_e32 v29, v88, v39
	v_pk_add_f32 v[68:69], v[68:69], v[84:85]
	v_mul_f32_e32 v89, v29, v12
	v_mul_f32_e32 v12, v11, v12
	v_pk_add_f32 v[68:69], v[68:69], v[86:87]
	v_fma_f32 v88, v29, v18, -v12
	v_pk_add_f32 v[68:69], v[68:69], v[82:83]
	v_fmac_f32_e32 v89, v11, v18
	s_waitcnt vmcnt(12)
	v_mov_b32_e32 v12, v103
	v_pk_mul_f32 v[82:83], v[98:99], v[102:103] op_sel:[1,0] op_sel_hi:[0,1]
	v_pk_mul_f32 v[80:81], v[98:99], v[12:13] op_sel:[1,0] op_sel_hi:[0,1]
	v_mov_b32_e32 v12, v83
	v_pk_fma_f32 v[82:83], v[98:99], v[102:103], v[12:13] op_sel:[1,0,0] op_sel_hi:[0,1,1]
	v_pk_fma_f32 v[80:81], v[98:99], v[102:103], v[80:81] neg_lo:[0,0,1] neg_hi:[0,0,1]
	v_pk_mul_f32 v[82:83], v[68:69], v[82:83] op_sel_hi:[1,0]
	s_waitcnt vmcnt(10)
	v_mov_b32_e32 v12, v105
	v_pk_fma_f32 v[84:85], v[68:69], v[80:81], v[82:83] op_sel:[0,0,1] op_sel_hi:[1,1,0] neg_lo:[0,0,1] neg_hi:[0,0,1]
	v_pk_fma_f32 v[68:69], v[68:69], v[80:81], v[82:83] op_sel:[0,0,1] op_sel_hi:[1,0,0]
	v_pk_mul_f32 v[82:83], v[100:101], v[104:105] op_sel:[1,0] op_sel_hi:[0,1]
	v_pk_mul_f32 v[80:81], v[100:101], v[12:13] op_sel:[1,0] op_sel_hi:[0,1]
	v_mov_b32_e32 v12, v83
	v_pk_fma_f32 v[80:81], v[100:101], v[104:105], v[80:81] neg_lo:[0,0,1] neg_hi:[0,0,1]
	v_pk_fma_f32 v[82:83], v[100:101], v[104:105], v[12:13] op_sel:[1,0,0] op_sel_hi:[0,1,1]
	s_waitcnt vmcnt(9)
	v_mov_b32_e32 v12, v107
	s_waitcnt vmcnt(8)
	v_pk_mul_f32 v[98:99], v[108:109], v[106:107] op_sel:[1,0] op_sel_hi:[0,1]
	v_pk_mul_f32 v[86:87], v[108:109], v[12:13] op_sel:[1,0] op_sel_hi:[0,1]
	v_mov_b32_e32 v12, v99
	v_pk_fma_f32 v[98:99], v[108:109], v[106:107], v[12:13] op_sel:[1,0,0] op_sel_hi:[0,1,1]
	s_waitcnt vmcnt(6)
	v_mul_f32_e32 v12, v111, v113
	v_fma_f32 v29, v110, v112, -v12
	v_pk_fma_f32 v[86:87], v[108:109], v[106:107], v[86:87] neg_lo:[0,0,1] neg_hi:[0,0,1]
	v_mul_f32_e32 v39, v110, v113
	s_waitcnt vmcnt(4)
	v_mul_f32_e32 v18, v114, v117
	v_mul_f32_e32 v11, v115, v117
	s_waitcnt vmcnt(3)
	v_mov_b32_e32 v12, v119
	s_waitcnt vmcnt(2)
	v_pk_mul_f32 v[102:103], v[120:121], v[118:119] op_sel:[1,0] op_sel_hi:[0,1]
	v_pk_mul_f32 v[100:101], v[120:121], v[12:13] op_sel:[1,0] op_sel_hi:[0,1]
	v_mov_b32_e32 v12, v103
	v_pk_fma_f32 v[102:103], v[120:121], v[118:119], v[12:13] op_sel:[1,0,0] op_sel_hi:[0,1,1]
	v_fmac_f32_e32 v18, v115, v116
	s_waitcnt vmcnt(1)
	v_mov_b32_e32 v104, v93
	v_mov_b32_e32 v105, v92
	v_pk_mul_f32 v[76:77], v[76:77], v[104:105] op_sel_hi:[0,1]
	v_pk_fma_f32 v[104:105], v[58:59], v[92:93], v[76:77] neg_lo:[0,0,1] neg_hi:[0,0,1]
	v_pk_fma_f32 v[58:59], v[58:59], v[92:93], v[76:77] op_sel_hi:[0,1,1]
	v_mov_b32_e32 v105, v59
	s_waitcnt vmcnt(0)
	v_pk_mul_f32 v[58:59], v[74:75], v[94:95] op_sel:[0,1] op_sel_hi:[0,0]
	v_pk_fma_f32 v[74:75], v[50:51], v[94:95], v[58:59] neg_lo:[0,0,1] neg_hi:[0,0,1]
	v_pk_fma_f32 v[50:51], v[50:51], v[94:95], v[58:59] op_sel_hi:[0,1,1]
	v_mov_b32_e32 v75, v51
	v_pk_mul_f32 v[50:51], v[70:71], v[90:91] op_sel:[0,1] op_sel_hi:[0,0]
	v_pk_fma_f32 v[70:71], v[40:41], v[90:91], v[50:51] neg_lo:[0,0,1] neg_hi:[0,0,1]
	v_pk_fma_f32 v[40:41], v[40:41], v[90:91], v[50:51] op_sel_hi:[0,1,1]
	v_mov_b32_e32 v71, v41
	v_mov_b32_e32 v40, v97
	;; [unrolled: 1-line block ×3, first 2 shown]
	v_pk_mul_f32 v[40:41], v[72:73], v[40:41] op_sel_hi:[0,1]
	v_pk_fma_f32 v[50:51], v[42:43], v[96:97], v[40:41] neg_lo:[0,0,1] neg_hi:[0,0,1]
	v_pk_fma_f32 v[40:41], v[42:43], v[96:97], v[40:41] op_sel_hi:[0,1,1]
	v_mov_b32_e32 v51, v41
	v_pk_add_f32 v[40:41], v[70:71], v[104:105] neg_lo:[0,1] neg_hi:[0,1]
	v_pk_add_f32 v[42:43], v[50:51], v[74:75] neg_lo:[0,1] neg_hi:[0,1]
	v_pk_add_f32 v[72:73], v[70:71], v[50:51] neg_lo:[0,1] neg_hi:[0,1]
	v_pk_add_f32 v[40:41], v[40:41], v[42:43]
	v_pk_add_f32 v[42:43], v[104:105], v[74:75]
	v_pk_add_f32 v[92:93], v[104:105], v[74:75] neg_lo:[0,1] neg_hi:[0,1]
	v_pk_fma_f32 v[42:43], v[42:43], 0.5, v[36:37] op_sel_hi:[1,0,1] neg_lo:[1,0,0] neg_hi:[1,0,0]
	v_pk_mul_f32 v[106:107], v[92:93], s[14:15] op_sel:[1,0] op_sel_hi:[0,0]
	v_pk_fma_f32 v[90:91], v[72:73], s[16:17], v[42:43] op_sel:[1,0,0] op_sel_hi:[0,0,1] neg_lo:[1,0,0] neg_hi:[1,0,0]
	v_pk_fma_f32 v[42:43], v[72:73], s[16:17], v[42:43] op_sel:[1,0,0] op_sel_hi:[0,0,1]
	v_mad_u64_u32 v[76:77], s[4:5], s10, v15, v[30:31]
	v_sub_f32_e32 v12, v91, v107
	v_add_f32_e32 v15, v106, v42
	v_pk_add_f32 v[106:107], v[36:37], v[70:71]
	v_pk_fma_f32 v[94:95], v[92:93], s[14:15], v[90:91] op_sel:[1,0,0] op_sel_hi:[0,0,1] neg_lo:[1,0,0] neg_hi:[1,0,0]
	v_pk_fma_f32 v[96:97], v[92:93], s[14:15], v[42:43] op_sel:[1,0,0] op_sel_hi:[0,0,1]
	v_pk_add_f32 v[106:107], v[106:107], v[104:105]
	v_mov_b32_e32 v95, v97
	v_pk_add_f32 v[106:107], v[106:107], v[74:75]
	v_pk_fma_f32 v[94:95], v[40:41], s[12:13], v[94:95] op_sel_hi:[1,0,1]
	v_pk_mul_f32 v[40:41], v[40:41], s[12:13] op_sel_hi:[1,0]
	v_pk_add_f32 v[106:107], v[106:107], v[50:51]
	v_pk_fma_f32 v[100:101], v[120:121], v[118:119], v[100:101] neg_lo:[0,0,1] neg_hi:[0,0,1]
	v_pk_mul_f32 v[82:83], v[94:95], v[82:83] op_sel_hi:[1,0]
	v_add_f32_e32 v15, v40, v15
	v_pk_mul_f32 v[102:103], v[106:107], v[102:103] op_sel_hi:[1,0]
	v_fma_f32 v11, v114, v116, -v11
	v_mov_b32_e32 v77, 0
	v_pk_fma_f32 v[96:97], v[94:95], v[80:81], v[82:83] op_sel:[0,0,1] op_sel_hi:[1,1,0] neg_lo:[0,0,1] neg_hi:[0,0,1]
	v_pk_fma_f32 v[80:81], v[94:95], v[80:81], v[82:83] op_sel:[0,0,1] op_sel_hi:[1,0,0]
	v_mad_u64_u32 v[82:83], s[4:5], s10, v35, v[30:31]
	v_add_f32_e32 v12, v41, v12
	v_mul_f32_e32 v41, v15, v18
	v_pk_fma_f32 v[108:109], v[106:107], v[100:101], v[102:103] op_sel:[0,0,1] op_sel_hi:[1,1,0] neg_lo:[0,0,1] neg_hi:[0,0,1]
	v_pk_fma_f32 v[100:101], v[106:107], v[100:101], v[102:103] op_sel:[0,0,1] op_sel_hi:[1,0,0]
	v_lshl_add_u64 v[58:59], v[76:77], 3, s[8:9]
	v_mov_b32_e32 v83, v77
	v_fmac_f32_e32 v41, v12, v11
	v_mul_f32_e32 v12, v12, v18
	v_mov_b32_e32 v109, v101
	v_lshl_add_u64 v[82:83], v[82:83], 3, s[8:9]
	v_fma_f32 v40, v15, v11, -v12
	global_store_dwordx2 v[58:59], v[108:109], off
	global_store_dwordx2 v[82:83], v[40:41], off
	v_pk_add_f32 v[58:59], v[74:75], v[50:51] neg_lo:[0,1] neg_hi:[0,1]
	v_pk_add_f32 v[50:51], v[70:71], v[50:51]
	v_pk_add_f32 v[40:41], v[104:105], v[70:71] neg_lo:[0,1] neg_hi:[0,1]
	v_pk_fma_f32 v[36:37], v[50:51], 0.5, v[36:37] op_sel_hi:[1,0,1] neg_lo:[1,0,0] neg_hi:[1,0,0]
	v_pk_add_f32 v[40:41], v[40:41], v[58:59]
	v_pk_fma_f32 v[50:51], v[92:93], s[16:17], v[36:37] op_sel:[1,0,0] op_sel_hi:[0,0,1]
	v_pk_fma_f32 v[36:37], v[92:93], s[16:17], v[36:37] op_sel:[1,0,0] op_sel_hi:[0,0,1] neg_lo:[1,0,0] neg_hi:[1,0,0]
	v_pk_mul_f32 v[70:71], v[72:73], s[14:15] op_sel:[1,0] op_sel_hi:[0,0]
	v_pk_mul_f32 v[58:59], v[40:41], s[12:13] op_sel_hi:[1,0]
	v_add_f32_e32 v12, v70, v36
	v_fmac_f32_e32 v39, v111, v112
	v_sub_f32_e32 v11, v51, v71
	v_add_f32_e32 v12, v58, v12
	v_pk_fma_f32 v[74:75], v[72:73], s[14:15], v[50:51] op_sel:[1,0,0] op_sel_hi:[0,0,1] neg_lo:[1,0,0] neg_hi:[1,0,0]
	v_pk_fma_f32 v[72:73], v[72:73], s[14:15], v[36:37] op_sel:[1,0,0] op_sel_hi:[0,0,1]
	v_add_f32_e32 v11, v59, v11
	v_mul_f32_e32 v37, v12, v39
	v_fmac_f32_e32 v37, v11, v29
	v_mul_f32_e32 v11, v11, v39
	v_fma_f32 v36, v12, v29, -v11
	v_mov_b32_e32 v11, 48
	v_mov_b32_e32 v75, v73
	v_mul_u32_u24_sdwa v11, v27, v11 dst_sel:DWORD dst_unused:UNUSED_PAD src0_sel:BYTE_1 src1_sel:DWORD
	v_pk_fma_f32 v[40:41], v[40:41], s[12:13], v[74:75] op_sel_hi:[1,0,1]
	v_or_b32_e32 v11, v11, v19
	v_mad_u64_u32 v[94:95], s[4:5], s10, v33, v[30:31]
	v_mad_u64_u32 v[90:91], s[4:5], s10, v31, v[30:31]
	;; [unrolled: 1-line block ×3, first 2 shown]
	v_pk_mul_f32 v[72:73], v[40:41], v[98:99] op_sel_hi:[1,0]
	v_mad_u64_u32 v[18:19], s[4:5], s10, v11, v[30:31]
	v_mov_b32_e32 v95, v77
	v_mov_b32_e32 v91, v77
	v_mov_b32_e32 v43, v77
	v_pk_fma_f32 v[74:75], v[40:41], v[86:87], v[72:73] op_sel:[0,0,1] op_sel_hi:[1,1,0] neg_lo:[0,0,1] neg_hi:[0,0,1]
	v_pk_fma_f32 v[40:41], v[40:41], v[86:87], v[72:73] op_sel:[0,0,1] op_sel_hi:[1,0,0]
	v_mov_b32_e32 v19, v77
	v_lshl_add_u64 v[94:95], v[94:95], 3, s[8:9]
	v_lshl_add_u64 v[90:91], v[90:91], 3, s[8:9]
	;; [unrolled: 1-line block ×3, first 2 shown]
	v_mov_b32_e32 v75, v41
	v_mov_b32_e32 v97, v81
	v_lshl_add_u64 v[18:19], v[18:19], 3, s[8:9]
	v_mov_b32_e32 v85, v69
	v_add_u32_e32 v12, 12, v11
	global_store_dwordx2 v[94:95], v[36:37], off
	global_store_dwordx2 v[90:91], v[74:75], off
	;; [unrolled: 1-line block ×4, first 2 shown]
	v_mad_u64_u32 v[18:19], s[4:5], s10, v12, v[30:31]
	v_mov_b32_e32 v19, v77
	v_lshl_add_u64 v[18:19], v[18:19], 3, s[8:9]
	v_add_u32_e32 v12, 24, v11
	global_store_dwordx2 v[18:19], v[88:89], off
	v_mad_u64_u32 v[18:19], s[4:5], s10, v12, v[30:31]
	v_mov_b32_e32 v19, v77
	v_lshl_add_u64 v[18:19], v[18:19], 3, s[8:9]
	v_add_u32_e32 v12, 36, v11
	global_store_dwordx2 v[18:19], v[78:79], off
	v_mad_u64_u32 v[18:19], s[4:5], s10, v12, v[30:31]
	v_mov_b32_e32 v19, v77
	v_lshl_add_u64 v[18:19], v[18:19], 3, s[8:9]
	v_mov_b32_e32 v15, v17
	v_add_u32_e32 v11, 48, v11
	global_store_dwordx2 v[18:19], v[14:15], off
	v_mad_u64_u32 v[14:15], s[4:5], s10, v11, v[30:31]
	v_mov_b32_e32 v15, v77
	v_lshl_add_u64 v[14:15], v[14:15], 3, s[8:9]
	v_mov_b32_e32 v11, v13
	global_store_dwordx2 v[14:15], v[10:11], off
.LBB0_34:
	s_or_b64 exec, exec, s[0:1]
	s_movk_i32 s4, 0x4c
	s_movk_i32 s0, 0x4b
	v_cmp_lt_u32_e64 s[0:1], s0, v0
	v_cmp_gt_u32_e64 s[4:5], s4, v0
	v_cndmask_b32_e64 v10, 0, 1, s[2:3]
	s_or_b64 vcc, s[0:1], vcc
	v_cndmask_b32_e64 v0, 0, 1, s[4:5]
	v_cndmask_b32_e32 v0, v10, v0, vcc
	v_and_b32_e32 v0, 1, v0
	v_cmp_eq_u32_e32 vcc, 1, v0
	s_and_saveexec_b64 s[0:1], vcc
	s_cbranch_execz .LBB0_36
; %bb.35:
	s_waitcnt vmcnt(0)
	v_pk_mul_f32 v[40:41], v[24:25], v[6:7] op_sel_hi:[0,1]
	v_pk_fma_f32 v[42:43], v[20:21], v[6:7], v[40:41] op_sel:[0,0,1] op_sel_hi:[1,1,0] neg_lo:[0,0,1] neg_hi:[0,0,1]
	v_pk_fma_f32 v[6:7], v[20:21], v[6:7], v[40:41] op_sel:[0,0,1] op_sel_hi:[0,1,0]
	v_mul_f32_e32 v35, v44, v47
	v_mov_b32_e32 v43, v7
	v_pk_mul_f32 v[6:7], v[38:39], v[8:9] op_sel_hi:[0,1]
	v_mov_b32_e32 v0, v53
	v_pk_mul_f32 v[12:13], v[48:49], v[52:53] op_sel:[1,0] op_sel_hi:[0,1]
	v_fmac_f32_e32 v35, v45, v46
	v_pk_fma_f32 v[38:39], v[28:29], v[8:9], v[6:7] op_sel:[0,0,1] op_sel_hi:[1,1,0] neg_lo:[0,0,1] neg_hi:[0,0,1]
	v_pk_fma_f32 v[6:7], v[28:29], v[8:9], v[6:7] op_sel:[0,0,1] op_sel_hi:[0,1,0]
	v_pk_mul_f32 v[10:11], v[48:49], v[0:1] op_sel:[1,0] op_sel_hi:[0,1]
	v_mov_b32_e32 v0, v13
	v_mov_b32_e32 v39, v7
	v_pk_mul_f32 v[6:7], v[34:35], v[2:3] op_sel_hi:[0,1]
	v_pk_fma_f32 v[12:13], v[48:49], v[52:53], v[0:1] op_sel:[1,0,0] op_sel_hi:[0,1,1]
	v_mul_f32_e32 v0, v45, v47
	v_pk_fma_f32 v[8:9], v[26:27], v[2:3], v[6:7] op_sel:[0,0,1] op_sel_hi:[1,1,0] neg_lo:[0,0,1] neg_hi:[0,0,1]
	v_pk_fma_f32 v[2:3], v[26:27], v[2:3], v[6:7] op_sel:[0,0,1] op_sel_hi:[0,1,0]
	v_fma_f32 v31, v44, v46, -v0
	v_mul_f32_e32 v0, v61, v65
	v_mov_b32_e32 v9, v3
	v_pk_mul_f32 v[2:3], v[32:33], v[4:5] op_sel_hi:[0,1]
	v_fma_f32 v44, v60, v64, -v0
	v_mov_b32_e32 v0, v57
	v_pk_mul_f32 v[16:17], v[54:55], v[56:57] op_sel:[1,0] op_sel_hi:[0,1]
	v_pk_fma_f32 v[6:7], v[22:23], v[4:5], v[2:3] op_sel:[0,0,1] op_sel_hi:[1,1,0] neg_lo:[0,0,1] neg_hi:[0,0,1]
	v_pk_fma_f32 v[2:3], v[22:23], v[4:5], v[2:3] op_sel:[0,0,1] op_sel_hi:[0,1,0]
	v_pk_mul_f32 v[14:15], v[54:55], v[0:1] op_sel:[1,0] op_sel_hi:[0,1]
	v_mov_b32_e32 v0, v17
	v_mov_b32_e32 v7, v3
	v_pk_add_f32 v[2:3], v[38:39], v[8:9]
	v_mov_b32_e32 v24, v21
	v_pk_fma_f32 v[16:17], v[54:55], v[56:57], v[0:1] op_sel:[1,0,0] op_sel_hi:[0,1,1]
	v_mov_b32_e32 v0, v67
	v_pk_mul_f32 v[36:37], v[62:63], v[66:67] op_sel:[1,0] op_sel_hi:[0,1]
	v_pk_fma_f32 v[2:3], v[2:3], 0.5, v[24:25] op_sel_hi:[1,0,1] neg_lo:[1,0,0] neg_hi:[1,0,0]
	v_pk_add_f32 v[4:5], v[42:43], v[6:7] neg_lo:[0,1] neg_hi:[0,1]
	s_mov_b32 s0, 0x3f737871
	v_pk_add_f32 v[28:29], v[42:43], v[38:39] neg_lo:[0,1] neg_hi:[0,1]
	v_pk_add_f32 v[32:33], v[6:7], v[8:9] neg_lo:[0,1] neg_hi:[0,1]
	v_pk_mul_f32 v[18:19], v[62:63], v[0:1] op_sel:[1,0] op_sel_hi:[0,1]
	v_mov_b32_e32 v0, v37
	v_pk_fma_f32 v[20:21], v[4:5], s[0:1], v[2:3] op_sel:[1,0,0] op_sel_hi:[0,0,1]
	v_pk_add_f32 v[26:27], v[38:39], v[8:9] neg_lo:[0,1] neg_hi:[0,1]
	s_mov_b32 s2, 0x3f167918
	v_pk_add_f32 v[28:29], v[28:29], v[32:33]
	s_mov_b32 s4, 0x3e9e377a
	v_pk_fma_f32 v[2:3], v[4:5], s[0:1], v[2:3] op_sel:[1,0,0] op_sel_hi:[0,0,1] neg_lo:[1,0,0] neg_hi:[1,0,0]
	v_pk_fma_f32 v[36:37], v[62:63], v[66:67], v[0:1] op_sel:[1,0,0] op_sel_hi:[0,1,1]
	v_pk_mul_f32 v[32:33], v[28:29], s[4:5] op_sel_hi:[1,0]
	v_fmamk_f32 v0, v27, 0x3f167918, v20
	v_pk_fma_f32 v[2:3], v[26:27], s[2:3], v[2:3] op_sel:[1,0,0] op_sel_hi:[0,0,1] neg_lo:[1,0,0] neg_hi:[1,0,0]
	v_pk_fma_f32 v[20:21], v[26:27], s[2:3], v[20:21] op_sel:[1,0,0] op_sel_hi:[0,0,1]
	v_add_f32_e32 v22, v33, v3
	v_mov_b32_e32 v3, v21
	v_pk_add_f32 v[20:21], v[24:25], v[42:43]
	v_pk_fma_f32 v[10:11], v[48:49], v[52:53], v[10:11] neg_lo:[0,0,1] neg_hi:[0,0,1]
	v_pk_add_f32 v[20:21], v[20:21], v[38:39]
	v_pk_fma_f32 v[2:3], v[28:29], s[4:5], v[2:3] op_sel_hi:[1,0,1]
	v_pk_add_f32 v[20:21], v[20:21], v[8:9]
	v_add_f32_e32 v0, v32, v0
	v_pk_add_f32 v[20:21], v[20:21], v[6:7]
	v_pk_add_f32 v[32:33], v[38:39], v[42:43] neg_lo:[0,1] neg_hi:[0,1]
	v_pk_mul_f32 v[12:13], v[20:21], v[12:13] op_sel_hi:[1,0]
	v_mul_f32_e32 v45, v60, v65
	v_pk_fma_f32 v[28:29], v[20:21], v[10:11], v[12:13] op_sel:[0,0,1] op_sel_hi:[1,1,0] neg_lo:[0,0,1] neg_hi:[0,0,1]
	v_pk_fma_f32 v[10:11], v[20:21], v[10:11], v[12:13] op_sel:[0,0,1] op_sel_hi:[1,0,0]
	v_pk_add_f32 v[20:21], v[42:43], v[6:7]
	v_pk_add_f32 v[6:7], v[8:9], v[6:7] neg_lo:[0,1] neg_hi:[0,1]
	v_pk_fma_f32 v[20:21], v[20:21], 0.5, v[24:25] op_sel_hi:[1,0,1] neg_lo:[1,0,0] neg_hi:[1,0,0]
	v_mul_f32_e32 v10, v22, v35
	v_pk_fma_f32 v[24:25], v[26:27], s[0:1], v[20:21] op_sel:[1,0,0] op_sel_hi:[0,0,1] neg_lo:[1,0,0] neg_hi:[1,0,0]
	v_pk_add_f32 v[6:7], v[32:33], v[6:7]
	v_pk_fma_f32 v[20:21], v[26:27], s[0:1], v[20:21] op_sel:[1,0,0] op_sel_hi:[0,0,1]
	v_fma_f32 v12, v0, v31, -v10
	v_mul_f32_e32 v13, v0, v35
	v_pk_mul_f32 v[8:9], v[6:7], s[4:5] op_sel_hi:[1,0]
	v_fmamk_f32 v0, v5, 0x3f167918, v24
	v_pk_fma_f32 v[20:21], v[4:5], s[2:3], v[20:21] op_sel:[1,0,0] op_sel_hi:[0,0,1] neg_lo:[1,0,0] neg_hi:[1,0,0]
	v_pk_fma_f32 v[4:5], v[4:5], s[2:3], v[24:25] op_sel:[1,0,0] op_sel_hi:[0,0,1]
	v_fmac_f32_e32 v45, v61, v64
	v_add_f32_e32 v0, v8, v0
	v_add_f32_e32 v8, v9, v21
	v_mov_b32_e32 v21, v5
	v_pk_fma_f32 v[4:5], v[6:7], s[4:5], v[20:21] op_sel_hi:[1,0,1]
	v_mul_f32_e32 v7, v0, v45
	v_pk_fma_f32 v[14:15], v[54:55], v[56:57], v[14:15] neg_lo:[0,0,1] neg_hi:[0,0,1]
	v_mul_f32_e32 v6, v8, v45
	v_fmac_f32_e32 v7, v8, v44
	v_pk_mul_f32 v[8:9], v[4:5], v[16:17] op_sel_hi:[1,0]
	v_pk_fma_f32 v[18:19], v[62:63], v[66:67], v[18:19] neg_lo:[0,0,1] neg_hi:[0,0,1]
	v_pk_fma_f32 v[16:17], v[4:5], v[14:15], v[8:9] op_sel:[0,0,1] op_sel_hi:[1,1,0] neg_lo:[0,0,1] neg_hi:[0,0,1]
	v_pk_fma_f32 v[4:5], v[4:5], v[14:15], v[8:9] op_sel:[0,0,1] op_sel_hi:[1,0,0]
	v_pk_mul_f32 v[8:9], v[2:3], v[36:37] op_sel_hi:[1,0]
	v_fma_f32 v6, v0, v44, -v6
	v_pk_fma_f32 v[14:15], v[2:3], v[18:19], v[8:9] op_sel:[0,0,1] op_sel_hi:[1,1,0] neg_lo:[0,0,1] neg_hi:[0,0,1]
	v_pk_fma_f32 v[2:3], v[2:3], v[18:19], v[8:9] op_sel:[0,0,1] op_sel_hi:[1,0,0]
	v_mov_b32_e32 v29, v11
	v_mad_u32_u24 v2, v23, 48, v1
	v_mad_u64_u32 v[0:1], s[0:1], s10, v2, v[30:31]
	v_mov_b32_e32 v1, 0
	v_lshl_add_u64 v[8:9], v[0:1], 3, s[8:9]
	v_add_u32_e32 v0, 12, v2
	global_store_dwordx2 v[8:9], v[28:29], off
	v_mad_u64_u32 v[8:9], s[0:1], s10, v0, v[30:31]
	v_mov_b32_e32 v9, v1
	v_fmac_f32_e32 v13, v22, v31
	v_lshl_add_u64 v[8:9], v[8:9], 3, s[8:9]
	v_add_u32_e32 v0, 24, v2
	global_store_dwordx2 v[8:9], v[12:13], off
	v_mad_u64_u32 v[8:9], s[0:1], s10, v0, v[30:31]
	v_mov_b32_e32 v9, v1
	v_lshl_add_u64 v[8:9], v[8:9], 3, s[8:9]
	v_add_u32_e32 v0, 36, v2
	global_store_dwordx2 v[8:9], v[6:7], off
	v_mad_u64_u32 v[6:7], s[0:1], s10, v0, v[30:31]
	v_add_u32_e32 v0, 48, v2
	v_mov_b32_e32 v17, v5
	v_mad_u64_u32 v[4:5], s[0:1], s10, v0, v[30:31]
	v_mov_b32_e32 v7, v1
	v_mov_b32_e32 v5, v1
	v_lshl_add_u64 v[6:7], v[6:7], 3, s[8:9]
	v_lshl_add_u64 v[0:1], v[4:5], 3, s[8:9]
	v_mov_b32_e32 v15, v3
	global_store_dwordx2 v[6:7], v[16:17], off
	global_store_dwordx2 v[0:1], v[14:15], off
.LBB0_36:
	s_endpgm
	.section	.rodata,"a",@progbits
	.p2align	6, 0x0
	.amdhsa_kernel fft_rtc_fwd_len60_factors_3_4_5_wgs_190_tpt_5_halfLds_dim2_sp_ip_CI_sbcc_twdbase8_2step_dirReg_intrinsicReadWrite
		.amdhsa_group_segment_fixed_size 0
		.amdhsa_private_segment_fixed_size 0
		.amdhsa_kernarg_size 88
		.amdhsa_user_sgpr_count 2
		.amdhsa_user_sgpr_dispatch_ptr 0
		.amdhsa_user_sgpr_queue_ptr 0
		.amdhsa_user_sgpr_kernarg_segment_ptr 1
		.amdhsa_user_sgpr_dispatch_id 0
		.amdhsa_user_sgpr_kernarg_preload_length 0
		.amdhsa_user_sgpr_kernarg_preload_offset 0
		.amdhsa_user_sgpr_private_segment_size 0
		.amdhsa_uses_dynamic_stack 0
		.amdhsa_enable_private_segment 0
		.amdhsa_system_sgpr_workgroup_id_x 1
		.amdhsa_system_sgpr_workgroup_id_y 0
		.amdhsa_system_sgpr_workgroup_id_z 0
		.amdhsa_system_sgpr_workgroup_info 0
		.amdhsa_system_vgpr_workitem_id 0
		.amdhsa_next_free_vgpr 122
		.amdhsa_next_free_sgpr 21
		.amdhsa_accum_offset 124
		.amdhsa_reserve_vcc 1
		.amdhsa_float_round_mode_32 0
		.amdhsa_float_round_mode_16_64 0
		.amdhsa_float_denorm_mode_32 3
		.amdhsa_float_denorm_mode_16_64 3
		.amdhsa_dx10_clamp 1
		.amdhsa_ieee_mode 1
		.amdhsa_fp16_overflow 0
		.amdhsa_tg_split 0
		.amdhsa_exception_fp_ieee_invalid_op 0
		.amdhsa_exception_fp_denorm_src 0
		.amdhsa_exception_fp_ieee_div_zero 0
		.amdhsa_exception_fp_ieee_overflow 0
		.amdhsa_exception_fp_ieee_underflow 0
		.amdhsa_exception_fp_ieee_inexact 0
		.amdhsa_exception_int_div_zero 0
	.end_amdhsa_kernel
	.text
.Lfunc_end0:
	.size	fft_rtc_fwd_len60_factors_3_4_5_wgs_190_tpt_5_halfLds_dim2_sp_ip_CI_sbcc_twdbase8_2step_dirReg_intrinsicReadWrite, .Lfunc_end0-fft_rtc_fwd_len60_factors_3_4_5_wgs_190_tpt_5_halfLds_dim2_sp_ip_CI_sbcc_twdbase8_2step_dirReg_intrinsicReadWrite
                                        ; -- End function
	.section	.AMDGPU.csdata,"",@progbits
; Kernel info:
; codeLenInByte = 6832
; NumSgprs: 27
; NumVgprs: 122
; NumAgprs: 0
; TotalNumVgprs: 122
; ScratchSize: 0
; MemoryBound: 0
; FloatMode: 240
; IeeeMode: 1
; LDSByteSize: 0 bytes/workgroup (compile time only)
; SGPRBlocks: 3
; VGPRBlocks: 15
; NumSGPRsForWavesPerEU: 27
; NumVGPRsForWavesPerEU: 122
; AccumOffset: 124
; Occupancy: 4
; WaveLimiterHint : 1
; COMPUTE_PGM_RSRC2:SCRATCH_EN: 0
; COMPUTE_PGM_RSRC2:USER_SGPR: 2
; COMPUTE_PGM_RSRC2:TRAP_HANDLER: 0
; COMPUTE_PGM_RSRC2:TGID_X_EN: 1
; COMPUTE_PGM_RSRC2:TGID_Y_EN: 0
; COMPUTE_PGM_RSRC2:TGID_Z_EN: 0
; COMPUTE_PGM_RSRC2:TIDIG_COMP_CNT: 0
; COMPUTE_PGM_RSRC3_GFX90A:ACCUM_OFFSET: 30
; COMPUTE_PGM_RSRC3_GFX90A:TG_SPLIT: 0
	.text
	.p2alignl 6, 3212836864
	.fill 256, 4, 3212836864
	.type	__hip_cuid_d33d7c10a84bd839,@object ; @__hip_cuid_d33d7c10a84bd839
	.section	.bss,"aw",@nobits
	.globl	__hip_cuid_d33d7c10a84bd839
__hip_cuid_d33d7c10a84bd839:
	.byte	0                               ; 0x0
	.size	__hip_cuid_d33d7c10a84bd839, 1

	.ident	"AMD clang version 19.0.0git (https://github.com/RadeonOpenCompute/llvm-project roc-6.4.0 25133 c7fe45cf4b819c5991fe208aaa96edf142730f1d)"
	.section	".note.GNU-stack","",@progbits
	.addrsig
	.addrsig_sym __hip_cuid_d33d7c10a84bd839
	.amdgpu_metadata
---
amdhsa.kernels:
  - .agpr_count:     0
    .args:
      - .actual_access:  read_only
        .address_space:  global
        .offset:         0
        .size:           8
        .value_kind:     global_buffer
      - .address_space:  global
        .offset:         8
        .size:           8
        .value_kind:     global_buffer
      - .actual_access:  read_only
        .address_space:  global
        .offset:         16
        .size:           8
        .value_kind:     global_buffer
      - .actual_access:  read_only
        .address_space:  global
        .offset:         24
        .size:           8
        .value_kind:     global_buffer
      - .offset:         32
        .size:           8
        .value_kind:     by_value
      - .actual_access:  read_only
        .address_space:  global
        .offset:         40
        .size:           8
        .value_kind:     global_buffer
      - .actual_access:  read_only
        .address_space:  global
        .offset:         48
        .size:           8
        .value_kind:     global_buffer
      - .offset:         56
        .size:           4
        .value_kind:     by_value
      - .actual_access:  read_only
        .address_space:  global
        .offset:         64
        .size:           8
        .value_kind:     global_buffer
      - .actual_access:  read_only
        .address_space:  global
        .offset:         72
        .size:           8
        .value_kind:     global_buffer
      - .address_space:  global
        .offset:         80
        .size:           8
        .value_kind:     global_buffer
    .group_segment_fixed_size: 0
    .kernarg_segment_align: 8
    .kernarg_segment_size: 88
    .language:       OpenCL C
    .language_version:
      - 2
      - 0
    .max_flat_workgroup_size: 190
    .name:           fft_rtc_fwd_len60_factors_3_4_5_wgs_190_tpt_5_halfLds_dim2_sp_ip_CI_sbcc_twdbase8_2step_dirReg_intrinsicReadWrite
    .private_segment_fixed_size: 0
    .sgpr_count:     27
    .sgpr_spill_count: 0
    .symbol:         fft_rtc_fwd_len60_factors_3_4_5_wgs_190_tpt_5_halfLds_dim2_sp_ip_CI_sbcc_twdbase8_2step_dirReg_intrinsicReadWrite.kd
    .uniform_work_group_size: 1
    .uses_dynamic_stack: false
    .vgpr_count:     122
    .vgpr_spill_count: 0
    .wavefront_size: 64
amdhsa.target:   amdgcn-amd-amdhsa--gfx950
amdhsa.version:
  - 1
  - 2
...

	.end_amdgpu_metadata
